;; amdgpu-corpus repo=ROCm/rocFFT kind=compiled arch=gfx906 opt=O3
	.text
	.amdgcn_target "amdgcn-amd-amdhsa--gfx906"
	.amdhsa_code_object_version 6
	.protected	fft_rtc_back_len1040_factors_13_16_5_wgs_208_tpt_208_halfLds_sp_ip_CI_unitstride_sbrr_R2C_dirReg ; -- Begin function fft_rtc_back_len1040_factors_13_16_5_wgs_208_tpt_208_halfLds_sp_ip_CI_unitstride_sbrr_R2C_dirReg
	.globl	fft_rtc_back_len1040_factors_13_16_5_wgs_208_tpt_208_halfLds_sp_ip_CI_unitstride_sbrr_R2C_dirReg
	.p2align	8
	.type	fft_rtc_back_len1040_factors_13_16_5_wgs_208_tpt_208_halfLds_sp_ip_CI_unitstride_sbrr_R2C_dirReg,@function
fft_rtc_back_len1040_factors_13_16_5_wgs_208_tpt_208_halfLds_sp_ip_CI_unitstride_sbrr_R2C_dirReg: ; @fft_rtc_back_len1040_factors_13_16_5_wgs_208_tpt_208_halfLds_sp_ip_CI_unitstride_sbrr_R2C_dirReg
; %bb.0:
	s_load_dwordx2 s[2:3], s[4:5], 0x50
	s_load_dwordx4 s[8:11], s[4:5], 0x0
	s_load_dwordx2 s[12:13], s[4:5], 0x18
	v_mul_u32_u24_e32 v1, 0x13c, v0
	v_add_u32_sdwa v5, s6, v1 dst_sel:DWORD dst_unused:UNUSED_PAD src0_sel:DWORD src1_sel:WORD_1
	v_mov_b32_e32 v3, 0
	s_waitcnt lgkmcnt(0)
	v_cmp_lt_u64_e64 s[0:1], s[10:11], 2
	v_mov_b32_e32 v1, 0
	v_mov_b32_e32 v6, v3
	s_and_b64 vcc, exec, s[0:1]
	v_mov_b32_e32 v2, 0
	s_cbranch_vccnz .LBB0_8
; %bb.1:
	s_load_dwordx2 s[0:1], s[4:5], 0x10
	s_add_u32 s6, s12, 8
	s_addc_u32 s7, s13, 0
	v_mov_b32_e32 v1, 0
	v_mov_b32_e32 v2, 0
	s_waitcnt lgkmcnt(0)
	s_add_u32 s14, s0, 8
	s_addc_u32 s15, s1, 0
	s_mov_b64 s[16:17], 1
.LBB0_2:                                ; =>This Inner Loop Header: Depth=1
	s_load_dwordx2 s[18:19], s[14:15], 0x0
                                        ; implicit-def: $vgpr7_vgpr8
	s_waitcnt lgkmcnt(0)
	v_or_b32_e32 v4, s19, v6
	v_cmp_ne_u64_e32 vcc, 0, v[3:4]
	s_and_saveexec_b64 s[0:1], vcc
	s_xor_b64 s[20:21], exec, s[0:1]
	s_cbranch_execz .LBB0_4
; %bb.3:                                ;   in Loop: Header=BB0_2 Depth=1
	v_cvt_f32_u32_e32 v4, s18
	v_cvt_f32_u32_e32 v7, s19
	s_sub_u32 s0, 0, s18
	s_subb_u32 s1, 0, s19
	v_mac_f32_e32 v4, 0x4f800000, v7
	v_rcp_f32_e32 v4, v4
	v_mul_f32_e32 v4, 0x5f7ffffc, v4
	v_mul_f32_e32 v7, 0x2f800000, v4
	v_trunc_f32_e32 v7, v7
	v_mac_f32_e32 v4, 0xcf800000, v7
	v_cvt_u32_f32_e32 v7, v7
	v_cvt_u32_f32_e32 v4, v4
	v_mul_lo_u32 v8, s0, v7
	v_mul_hi_u32 v9, s0, v4
	v_mul_lo_u32 v11, s1, v4
	v_mul_lo_u32 v10, s0, v4
	v_add_u32_e32 v8, v9, v8
	v_add_u32_e32 v8, v8, v11
	v_mul_hi_u32 v9, v4, v10
	v_mul_lo_u32 v11, v4, v8
	v_mul_hi_u32 v13, v4, v8
	v_mul_hi_u32 v12, v7, v10
	v_mul_lo_u32 v10, v7, v10
	v_mul_hi_u32 v14, v7, v8
	v_add_co_u32_e32 v9, vcc, v9, v11
	v_addc_co_u32_e32 v11, vcc, 0, v13, vcc
	v_mul_lo_u32 v8, v7, v8
	v_add_co_u32_e32 v9, vcc, v9, v10
	v_addc_co_u32_e32 v9, vcc, v11, v12, vcc
	v_addc_co_u32_e32 v10, vcc, 0, v14, vcc
	v_add_co_u32_e32 v8, vcc, v9, v8
	v_addc_co_u32_e32 v9, vcc, 0, v10, vcc
	v_add_co_u32_e32 v4, vcc, v4, v8
	v_addc_co_u32_e32 v7, vcc, v7, v9, vcc
	v_mul_lo_u32 v8, s0, v7
	v_mul_hi_u32 v9, s0, v4
	v_mul_lo_u32 v10, s1, v4
	v_mul_lo_u32 v11, s0, v4
	v_add_u32_e32 v8, v9, v8
	v_add_u32_e32 v8, v8, v10
	v_mul_lo_u32 v12, v4, v8
	v_mul_hi_u32 v13, v4, v11
	v_mul_hi_u32 v14, v4, v8
	;; [unrolled: 1-line block ×3, first 2 shown]
	v_mul_lo_u32 v11, v7, v11
	v_mul_hi_u32 v9, v7, v8
	v_add_co_u32_e32 v12, vcc, v13, v12
	v_addc_co_u32_e32 v13, vcc, 0, v14, vcc
	v_mul_lo_u32 v8, v7, v8
	v_add_co_u32_e32 v11, vcc, v12, v11
	v_addc_co_u32_e32 v10, vcc, v13, v10, vcc
	v_addc_co_u32_e32 v9, vcc, 0, v9, vcc
	v_add_co_u32_e32 v8, vcc, v10, v8
	v_addc_co_u32_e32 v9, vcc, 0, v9, vcc
	v_add_co_u32_e32 v4, vcc, v4, v8
	v_addc_co_u32_e32 v9, vcc, v7, v9, vcc
	v_mad_u64_u32 v[7:8], s[0:1], v5, v9, 0
	v_mul_hi_u32 v10, v5, v4
	v_add_co_u32_e32 v11, vcc, v10, v7
	v_addc_co_u32_e32 v12, vcc, 0, v8, vcc
	v_mad_u64_u32 v[7:8], s[0:1], v6, v4, 0
	v_mad_u64_u32 v[9:10], s[0:1], v6, v9, 0
	v_add_co_u32_e32 v4, vcc, v11, v7
	v_addc_co_u32_e32 v4, vcc, v12, v8, vcc
	v_addc_co_u32_e32 v7, vcc, 0, v10, vcc
	v_add_co_u32_e32 v4, vcc, v4, v9
	v_addc_co_u32_e32 v9, vcc, 0, v7, vcc
	v_mul_lo_u32 v10, s19, v4
	v_mul_lo_u32 v11, s18, v9
	v_mad_u64_u32 v[7:8], s[0:1], s18, v4, 0
	v_add3_u32 v8, v8, v11, v10
	v_sub_u32_e32 v10, v6, v8
	v_mov_b32_e32 v11, s19
	v_sub_co_u32_e32 v7, vcc, v5, v7
	v_subb_co_u32_e64 v10, s[0:1], v10, v11, vcc
	v_subrev_co_u32_e64 v11, s[0:1], s18, v7
	v_subbrev_co_u32_e64 v10, s[0:1], 0, v10, s[0:1]
	v_cmp_le_u32_e64 s[0:1], s19, v10
	v_cndmask_b32_e64 v12, 0, -1, s[0:1]
	v_cmp_le_u32_e64 s[0:1], s18, v11
	v_cndmask_b32_e64 v11, 0, -1, s[0:1]
	v_cmp_eq_u32_e64 s[0:1], s19, v10
	v_cndmask_b32_e64 v10, v12, v11, s[0:1]
	v_add_co_u32_e64 v11, s[0:1], 2, v4
	v_addc_co_u32_e64 v12, s[0:1], 0, v9, s[0:1]
	v_add_co_u32_e64 v13, s[0:1], 1, v4
	v_addc_co_u32_e64 v14, s[0:1], 0, v9, s[0:1]
	v_subb_co_u32_e32 v8, vcc, v6, v8, vcc
	v_cmp_ne_u32_e64 s[0:1], 0, v10
	v_cmp_le_u32_e32 vcc, s19, v8
	v_cndmask_b32_e64 v10, v14, v12, s[0:1]
	v_cndmask_b32_e64 v12, 0, -1, vcc
	v_cmp_le_u32_e32 vcc, s18, v7
	v_cndmask_b32_e64 v7, 0, -1, vcc
	v_cmp_eq_u32_e32 vcc, s19, v8
	v_cndmask_b32_e32 v7, v12, v7, vcc
	v_cmp_ne_u32_e32 vcc, 0, v7
	v_cndmask_b32_e64 v7, v13, v11, s[0:1]
	v_cndmask_b32_e32 v8, v9, v10, vcc
	v_cndmask_b32_e32 v7, v4, v7, vcc
.LBB0_4:                                ;   in Loop: Header=BB0_2 Depth=1
	s_andn2_saveexec_b64 s[0:1], s[20:21]
	s_cbranch_execz .LBB0_6
; %bb.5:                                ;   in Loop: Header=BB0_2 Depth=1
	v_cvt_f32_u32_e32 v4, s18
	s_sub_i32 s20, 0, s18
	v_rcp_iflag_f32_e32 v4, v4
	v_mul_f32_e32 v4, 0x4f7ffffe, v4
	v_cvt_u32_f32_e32 v4, v4
	v_mul_lo_u32 v7, s20, v4
	v_mul_hi_u32 v7, v4, v7
	v_add_u32_e32 v4, v4, v7
	v_mul_hi_u32 v4, v5, v4
	v_mul_lo_u32 v7, v4, s18
	v_add_u32_e32 v8, 1, v4
	v_sub_u32_e32 v7, v5, v7
	v_subrev_u32_e32 v9, s18, v7
	v_cmp_le_u32_e32 vcc, s18, v7
	v_cndmask_b32_e32 v7, v7, v9, vcc
	v_cndmask_b32_e32 v4, v4, v8, vcc
	v_add_u32_e32 v8, 1, v4
	v_cmp_le_u32_e32 vcc, s18, v7
	v_cndmask_b32_e32 v7, v4, v8, vcc
	v_mov_b32_e32 v8, v3
.LBB0_6:                                ;   in Loop: Header=BB0_2 Depth=1
	s_or_b64 exec, exec, s[0:1]
	v_mul_lo_u32 v4, v8, s18
	v_mul_lo_u32 v11, v7, s19
	v_mad_u64_u32 v[9:10], s[0:1], v7, s18, 0
	s_load_dwordx2 s[0:1], s[6:7], 0x0
	s_add_u32 s16, s16, 1
	v_add3_u32 v4, v10, v11, v4
	v_sub_co_u32_e32 v5, vcc, v5, v9
	v_subb_co_u32_e32 v4, vcc, v6, v4, vcc
	s_waitcnt lgkmcnt(0)
	v_mul_lo_u32 v4, s0, v4
	v_mul_lo_u32 v6, s1, v5
	v_mad_u64_u32 v[1:2], s[0:1], s0, v5, v[1:2]
	s_addc_u32 s17, s17, 0
	s_add_u32 s6, s6, 8
	v_add3_u32 v2, v6, v2, v4
	v_mov_b32_e32 v4, s10
	v_mov_b32_e32 v5, s11
	s_addc_u32 s7, s7, 0
	v_cmp_ge_u64_e32 vcc, s[16:17], v[4:5]
	s_add_u32 s14, s14, 8
	s_addc_u32 s15, s15, 0
	s_cbranch_vccnz .LBB0_9
; %bb.7:                                ;   in Loop: Header=BB0_2 Depth=1
	v_mov_b32_e32 v5, v7
	v_mov_b32_e32 v6, v8
	s_branch .LBB0_2
.LBB0_8:
	v_mov_b32_e32 v8, v6
	v_mov_b32_e32 v7, v5
.LBB0_9:
	s_lshl_b64 s[0:1], s[10:11], 3
	s_add_u32 s0, s12, s0
	s_addc_u32 s1, s13, s1
	s_load_dwordx2 s[6:7], s[0:1], 0x0
	s_load_dwordx2 s[10:11], s[4:5], 0x20
	s_waitcnt lgkmcnt(0)
	v_mad_u64_u32 v[1:2], s[0:1], s6, v7, v[1:2]
	s_mov_b32 s0, 0x13b13b2
	v_mul_lo_u32 v3, s6, v8
	v_mul_lo_u32 v4, s7, v7
	v_mul_hi_u32 v5, v0, s0
	v_cmp_gt_u64_e64 s[0:1], s[10:11], v[7:8]
	v_add3_u32 v2, v4, v2, v3
	v_mul_u32_u24_e32 v3, 0xd0, v5
	v_sub_u32_e32 v32, v0, v3
	v_lshlrev_b64 v[34:35], 3, v[1:2]
	v_lshl_add_u32 v36, v32, 3, 0
	s_and_saveexec_b64 s[4:5], s[0:1]
	s_cbranch_execz .LBB0_11
; %bb.10:
	v_mov_b32_e32 v33, 0
	v_mov_b32_e32 v0, s3
	v_add_co_u32_e32 v2, vcc, s2, v34
	v_addc_co_u32_e32 v3, vcc, v0, v35, vcc
	v_lshlrev_b64 v[0:1], 3, v[32:33]
	v_add_co_u32_e32 v0, vcc, v2, v0
	v_addc_co_u32_e32 v1, vcc, v3, v1, vcc
	v_add_co_u32_e32 v2, vcc, 0x1000, v0
	v_addc_co_u32_e32 v3, vcc, 0, v1, vcc
	global_load_dwordx2 v[4:5], v[0:1], off
	global_load_dwordx2 v[6:7], v[0:1], off offset:1664
	global_load_dwordx2 v[8:9], v[0:1], off offset:3328
	;; [unrolled: 1-line block ×4, first 2 shown]
	v_add_u32_e32 v0, 0xc00, v36
	s_waitcnt vmcnt(3)
	ds_write2_b64 v36, v[4:5], v[6:7] offset1:208
	s_waitcnt vmcnt(1)
	ds_write2_b64 v0, v[8:9], v[10:11] offset0:32 offset1:240
	s_waitcnt vmcnt(0)
	ds_write_b64 v36, v[12:13] offset:6656
.LBB0_11:
	s_or_b64 exec, exec, s[4:5]
	s_waitcnt lgkmcnt(0)
	s_barrier
	ds_read2_b64 v[0:3], v36 offset1:80
	ds_read2_b64 v[8:11], v36 offset0:160 offset1:240
	v_add_u32_e32 v4, 0x800, v36
	ds_read2_b64 v[12:15], v4 offset0:64 offset1:144
	v_add_u32_e32 v4, 0x1000, v36
	ds_read2_b64 v[16:19], v4 offset0:128 offset1:208
	s_waitcnt lgkmcnt(3)
	v_add_f32_e32 v5, v0, v2
	v_add_f32_e32 v6, v1, v3
	s_waitcnt lgkmcnt(2)
	v_add_f32_e32 v5, v5, v8
	v_add_f32_e32 v6, v6, v9
	v_add_f32_e32 v5, v5, v10
	v_add_f32_e32 v6, v6, v11
	s_waitcnt lgkmcnt(1)
	v_add_f32_e32 v4, v5, v12
	v_add_f32_e32 v5, v6, v13
	s_waitcnt lgkmcnt(0)
	v_add_f32_e32 v7, v18, v12
	v_sub_f32_e32 v6, v12, v18
	v_add_u32_e32 v12, 0xc00, v36
	ds_read2_b64 v[20:23], v12 offset0:96 offset1:176
	v_add_u32_e32 v12, 0x1800, v36
	v_add_f32_e32 v4, v4, v14
	v_add_f32_e32 v5, v5, v15
	;; [unrolled: 1-line block ×3, first 2 shown]
	v_sub_f32_e32 v25, v13, v19
	v_add_f32_e32 v26, v16, v14
	v_add_f32_e32 v30, v17, v15
	v_sub_f32_e32 v27, v14, v16
	v_sub_f32_e32 v37, v15, v17
	ds_read2_b64 v[12:15], v12 offset0:32 offset1:112
	s_waitcnt lgkmcnt(1)
	v_add_f32_e32 v4, v4, v20
	v_add_f32_e32 v5, v5, v21
	;; [unrolled: 1-line block ×8, first 2 shown]
	s_waitcnt lgkmcnt(0)
	v_add_f32_e32 v31, v14, v8
	v_sub_f32_e32 v28, v8, v14
	v_add_f32_e32 v8, v4, v12
	ds_read_b64 v[4:5], v36 offset:7680
	v_add_f32_e32 v40, v13, v11
	v_sub_f32_e32 v41, v11, v13
	v_add_f32_e32 v38, v15, v9
	v_sub_f32_e32 v39, v9, v15
	s_waitcnt lgkmcnt(0)
	v_sub_f32_e32 v11, v3, v5
	v_add_f32_e32 v33, v12, v10
	v_sub_f32_e32 v29, v10, v12
	v_add_f32_e32 v9, v16, v13
	v_add_f32_e32 v8, v8, v14
	v_mul_f32_e32 v12, 0xbeedf032, v11
	v_mul_f32_e32 v14, 0xbf52af12, v11
	;; [unrolled: 1-line block ×6, first 2 shown]
	v_add_f32_e32 v9, v9, v15
	s_mov_b32 s4, 0x3f62ad3f
	v_add_f32_e32 v10, v4, v2
	v_mov_b32_e32 v13, v12
	s_mov_b32 s5, 0x3f116cb1
	v_mov_b32_e32 v15, v14
	s_mov_b32 s6, 0x3df6dbef
	;; [unrolled: 2-line block ×5, first 2 shown]
	v_mov_b32_e32 v44, v11
	v_add_f32_e32 v3, v5, v3
	v_fmac_f32_e32 v13, 0x3f62ad3f, v10
	v_fma_f32 v12, v10, s4, -v12
	v_fmac_f32_e32 v15, 0x3f116cb1, v10
	v_fma_f32 v14, v10, s5, -v14
	;; [unrolled: 2-line block ×6, first 2 shown]
	v_mul_f32_e32 v11, 0x3f62ad3f, v3
	v_mul_f32_e32 v46, 0x3f116cb1, v3
	;; [unrolled: 1-line block ×6, first 2 shown]
	v_sub_f32_e32 v2, v2, v4
	v_mov_b32_e32 v45, v11
	v_mov_b32_e32 v47, v46
	;; [unrolled: 1-line block ×6, first 2 shown]
	v_fmac_f32_e32 v45, 0x3eedf032, v2
	v_fmac_f32_e32 v47, 0x3f52af12, v2
	;; [unrolled: 1-line block ×12, first 2 shown]
	v_add_f32_e32 v2, v0, v13
	v_add_f32_e32 v13, v1, v45
	;; [unrolled: 1-line block ×19, first 2 shown]
	v_mul_f32_e32 v4, 0xbf52af12, v39
	v_add_f32_e32 v55, v1, v3
	v_mov_b32_e32 v3, v4
	v_add_f32_e32 v11, v1, v11
	v_add_f32_e32 v46, v1, v46
	;; [unrolled: 1-line block ×6, first 2 shown]
	v_fmac_f32_e32 v3, 0x3f116cb1, v31
	v_mul_f32_e32 v5, 0xbf7e222b, v41
	v_add_f32_e32 v2, v3, v2
	v_mov_b32_e32 v3, v5
	v_fmac_f32_e32 v3, 0x3df6dbef, v33
	v_mul_f32_e32 v8, 0xbf6f5d39, v25
	v_add_f32_e32 v2, v3, v2
	v_mov_b32_e32 v3, v8
	v_fmac_f32_e32 v3, 0xbeb58ec6, v7
	v_mul_f32_e32 v9, 0xbf29c268, v37
	v_sub_f32_e32 v59, v21, v23
	v_add_f32_e32 v2, v3, v2
	v_mov_b32_e32 v3, v9
	v_fmac_f32_e32 v3, 0xbf3f9e67, v26
	v_mul_f32_e32 v10, 0xbe750f2a, v59
	v_add_f32_e32 v56, v22, v20
	v_add_f32_e32 v2, v3, v2
	v_mov_b32_e32 v3, v10
	v_fma_f32 v4, v31, s5, -v4
	v_sub_f32_e32 v58, v20, v22
	v_fmac_f32_e32 v3, 0xbf788fa5, v56
	v_mul_f32_e32 v20, 0x3f116cb1, v38
	v_add_f32_e32 v4, v4, v12
	v_fma_f32 v5, v33, s6, -v5
	v_add_f32_e32 v2, v3, v2
	v_mov_b32_e32 v3, v20
	v_add_f32_e32 v4, v5, v4
	v_fma_f32 v8, v7, s7, -v8
	v_fmac_f32_e32 v3, 0x3f52af12, v28
	v_add_f32_e32 v4, v8, v4
	v_fma_f32 v8, v26, s10, -v9
	v_add_f32_e32 v3, v3, v13
	v_mul_f32_e32 v13, 0x3df6dbef, v40
	v_fmac_f32_e32 v20, 0xbf52af12, v28
	v_add_f32_e32 v4, v8, v4
	v_fma_f32 v8, v56, s11, -v10
	v_mul_f32_e32 v10, 0xbf6f5d39, v39
	v_add_f32_e32 v57, v23, v21
	v_mov_b32_e32 v21, v13
	v_add_f32_e32 v11, v20, v11
	v_fmac_f32_e32 v13, 0xbf7e222b, v29
	v_add_f32_e32 v4, v8, v4
	v_mov_b32_e32 v8, v10
	v_mul_f32_e32 v12, 0xbe750f2a, v41
	v_add_f32_e32 v5, v13, v11
	v_fmac_f32_e32 v8, 0xbeb58ec6, v31
	v_mov_b32_e32 v13, v12
	v_add_f32_e32 v8, v8, v15
	v_mul_f32_e32 v11, 0xbeb58ec6, v38
	v_fmac_f32_e32 v13, 0xbf788fa5, v33
	v_mov_b32_e32 v9, v11
	v_add_f32_e32 v8, v13, v8
	v_mul_f32_e32 v13, 0xbf788fa5, v40
	v_fmac_f32_e32 v9, 0x3f6f5d39, v28
	v_mov_b32_e32 v15, v13
	v_add_f32_e32 v9, v9, v45
	v_fmac_f32_e32 v15, 0x3e750f2a, v29
	v_add_f32_e32 v9, v15, v9
	v_mul_f32_e32 v15, 0x3f29c268, v25
	v_fmac_f32_e32 v21, 0x3f7e222b, v29
	v_mov_b32_e32 v20, v15
	v_add_f32_e32 v3, v21, v3
	v_mul_f32_e32 v21, 0xbeb58ec6, v24
	v_fmac_f32_e32 v20, 0xbf3f9e67, v7
	v_mov_b32_e32 v22, v21
	v_fmac_f32_e32 v21, 0xbf6f5d39, v6
	v_add_f32_e32 v8, v20, v8
	v_mul_f32_e32 v20, 0xbf3f9e67, v24
	v_fmac_f32_e32 v22, 0x3f6f5d39, v6
	v_add_f32_e32 v5, v21, v5
	v_mov_b32_e32 v21, v20
	v_add_f32_e32 v3, v22, v3
	v_mul_f32_e32 v22, 0xbf3f9e67, v30
	v_fmac_f32_e32 v21, 0xbf29c268, v6
	v_mov_b32_e32 v23, v22
	v_fmac_f32_e32 v22, 0xbf29c268, v27
	v_add_f32_e32 v9, v21, v9
	v_mul_f32_e32 v21, 0x3f7e222b, v37
	v_fmac_f32_e32 v23, 0x3f29c268, v27
	v_add_f32_e32 v5, v22, v5
	v_mov_b32_e32 v22, v21
	v_add_f32_e32 v3, v23, v3
	v_mul_f32_e32 v23, 0xbf788fa5, v57
	v_fmac_f32_e32 v22, 0x3df6dbef, v26
	v_mov_b32_e32 v60, v23
	v_fmac_f32_e32 v23, 0xbe750f2a, v58
	v_add_f32_e32 v8, v22, v8
	v_mul_f32_e32 v22, 0x3df6dbef, v30
	v_fma_f32 v10, v31, s7, -v10
	v_add_f32_e32 v5, v23, v5
	v_mov_b32_e32 v23, v22
	v_add_f32_e32 v10, v10, v14
	v_fma_f32 v12, v33, s11, -v12
	v_fmac_f32_e32 v23, 0xbf7e222b, v27
	v_fmac_f32_e32 v11, 0xbf6f5d39, v28
	v_add_f32_e32 v10, v12, v10
	v_fma_f32 v12, v7, s10, -v15
	v_add_f32_e32 v9, v23, v9
	v_mul_f32_e32 v23, 0x3eedf032, v59
	v_add_f32_e32 v11, v11, v46
	v_fmac_f32_e32 v13, 0xbe750f2a, v29
	v_add_f32_e32 v10, v12, v10
	v_fma_f32 v12, v26, s6, -v21
	v_fmac_f32_e32 v60, 0x3e750f2a, v58
	v_add_f32_e32 v11, v13, v11
	v_fmac_f32_e32 v20, 0x3f29c268, v6
	v_add_f32_e32 v10, v12, v10
	v_fma_f32 v12, v56, s4, -v23
	v_add_f32_e32 v3, v60, v3
	v_mul_f32_e32 v60, 0x3f62ad3f, v57
	v_add_f32_e32 v11, v20, v11
	v_fmac_f32_e32 v22, 0x3f7e222b, v27
	v_add_f32_e32 v14, v12, v10
	v_mul_f32_e32 v12, 0xbe750f2a, v39
	v_mov_b32_e32 v61, v60
	v_add_f32_e32 v11, v22, v11
	v_fmac_f32_e32 v60, 0x3eedf032, v58
	v_mov_b32_e32 v10, v12
	v_mul_f32_e32 v13, 0x3f6f5d39, v41
	v_add_f32_e32 v15, v60, v11
	v_fmac_f32_e32 v10, 0xbf788fa5, v31
	v_mov_b32_e32 v11, v13
	v_add_f32_e32 v10, v10, v17
	v_fmac_f32_e32 v11, 0xbeb58ec6, v33
	v_mul_f32_e32 v17, 0x3eedf032, v25
	v_add_f32_e32 v10, v11, v10
	v_mov_b32_e32 v11, v17
	v_fmac_f32_e32 v11, 0x3f62ad3f, v7
	v_mul_f32_e32 v20, 0xbf52af12, v37
	v_add_f32_e32 v10, v11, v10
	v_mov_b32_e32 v11, v20
	;; [unrolled: 4-line block ×3, first 2 shown]
	v_fma_f32 v12, v31, s11, -v12
	v_mov_b32_e32 v45, v23
	v_fmac_f32_e32 v11, 0xbf3f9e67, v56
	v_mul_f32_e32 v22, 0xbf788fa5, v38
	v_add_f32_e32 v12, v12, v16
	v_fma_f32 v13, v33, s7, -v13
	v_fmac_f32_e32 v45, 0x3f62ad3f, v56
	v_add_f32_e32 v10, v11, v10
	v_mov_b32_e32 v11, v22
	v_mul_f32_e32 v23, 0xbeb58ec6, v40
	v_add_f32_e32 v12, v13, v12
	v_fma_f32 v13, v7, s4, -v17
	v_add_f32_e32 v8, v45, v8
	v_fmac_f32_e32 v11, 0x3e750f2a, v28
	v_mov_b32_e32 v45, v23
	v_add_f32_e32 v12, v13, v12
	v_fma_f32 v13, v26, s5, -v20
	v_mul_f32_e32 v16, 0x3f29c268, v39
	v_add_f32_e32 v11, v11, v47
	v_fmac_f32_e32 v45, 0xbf6f5d39, v29
	v_add_f32_e32 v12, v13, v12
	v_fma_f32 v13, v56, s10, -v21
	v_fmac_f32_e32 v22, 0xbe750f2a, v28
	v_mov_b32_e32 v17, v16
	v_add_f32_e32 v11, v45, v11
	v_mul_f32_e32 v45, 0x3f62ad3f, v24
	v_add_f32_e32 v12, v13, v12
	v_add_f32_e32 v13, v22, v48
	v_fmac_f32_e32 v17, 0xbf3f9e67, v31
	v_mul_f32_e32 v22, 0x3eedf032, v41
	v_mov_b32_e32 v46, v45
	v_fmac_f32_e32 v23, 0x3f6f5d39, v29
	v_add_f32_e32 v17, v17, v19
	v_mul_f32_e32 v19, 0xbf3f9e67, v38
	v_mov_b32_e32 v21, v22
	v_fmac_f32_e32 v46, 0xbeedf032, v6
	v_add_f32_e32 v13, v23, v13
	v_mov_b32_e32 v20, v19
	v_fmac_f32_e32 v21, 0x3f62ad3f, v33
	v_mul_f32_e32 v23, 0x3f62ad3f, v40
	v_add_f32_e32 v11, v46, v11
	v_mul_f32_e32 v46, 0x3f116cb1, v30
	v_fmac_f32_e32 v45, 0x3eedf032, v6
	v_fmac_f32_e32 v20, 0xbf29c268, v28
	v_add_f32_e32 v17, v21, v17
	v_mov_b32_e32 v21, v23
	v_mov_b32_e32 v47, v46
	v_add_f32_e32 v13, v45, v13
	v_add_f32_e32 v20, v20, v49
	v_fmac_f32_e32 v21, 0xbeedf032, v29
	v_mul_f32_e32 v45, 0xbf7e222b, v25
	v_fmac_f32_e32 v47, 0x3f52af12, v27
	v_fmac_f32_e32 v46, 0xbf52af12, v27
	v_add_f32_e32 v20, v21, v20
	v_mov_b32_e32 v21, v45
	v_add_f32_e32 v11, v47, v11
	v_mul_f32_e32 v47, 0xbf3f9e67, v57
	v_add_f32_e32 v13, v46, v13
	v_fmac_f32_e32 v21, 0x3df6dbef, v7
	v_mul_f32_e32 v46, 0x3df6dbef, v24
	v_mov_b32_e32 v60, v47
	v_fmac_f32_e32 v47, 0xbf29c268, v58
	v_add_f32_e32 v17, v21, v17
	v_mov_b32_e32 v21, v46
	v_add_f32_e32 v13, v47, v13
	v_fmac_f32_e32 v21, 0x3f7e222b, v6
	v_mul_f32_e32 v47, 0x3e750f2a, v37
	v_add_f32_e32 v20, v21, v20
	v_mov_b32_e32 v21, v47
	v_fmac_f32_e32 v21, 0xbf788fa5, v26
	v_mul_f32_e32 v48, 0xbf788fa5, v30
	v_add_f32_e32 v17, v21, v17
	v_mov_b32_e32 v21, v48
	;; [unrolled: 4-line block ×3, first 2 shown]
	v_fma_f32 v16, v31, s10, -v16
	v_fmac_f32_e32 v20, 0x3f116cb1, v56
	v_add_f32_e32 v16, v16, v18
	v_fmac_f32_e32 v19, 0x3f29c268, v28
	v_fma_f32 v18, v33, s4, -v22
	v_add_f32_e32 v20, v20, v17
	v_add_f32_e32 v17, v19, v50
	;; [unrolled: 1-line block ×3, first 2 shown]
	v_fmac_f32_e32 v23, 0x3eedf032, v29
	v_fma_f32 v18, v7, s6, -v45
	v_fmac_f32_e32 v60, 0x3f29c268, v58
	v_add_f32_e32 v17, v23, v17
	v_add_f32_e32 v16, v18, v16
	v_fmac_f32_e32 v46, 0xbf7e222b, v6
	v_fma_f32 v18, v26, s11, -v47
	v_fmac_f32_e32 v61, 0xbeedf032, v58
	v_add_f32_e32 v11, v60, v11
	v_mul_f32_e32 v60, 0x3f116cb1, v57
	v_add_f32_e32 v17, v46, v17
	v_add_f32_e32 v16, v18, v16
	v_fmac_f32_e32 v48, 0x3e750f2a, v27
	v_fma_f32 v18, v56, s5, -v49
	v_add_f32_e32 v9, v61, v9
	v_mov_b32_e32 v61, v60
	v_add_f32_e32 v17, v48, v17
	v_fmac_f32_e32 v60, 0x3f52af12, v58
	v_add_f32_e32 v18, v18, v16
	v_mul_f32_e32 v16, 0x3f7e222b, v39
	v_add_f32_e32 v19, v60, v17
	v_mov_b32_e32 v17, v16
	v_fmac_f32_e32 v17, 0x3df6dbef, v31
	v_add_f32_e32 v17, v17, v43
	v_mul_f32_e32 v43, 0xbf52af12, v41
	v_mov_b32_e32 v22, v43
	v_fmac_f32_e32 v22, 0x3f116cb1, v33
	v_mul_f32_e32 v45, 0x3e750f2a, v25
	v_fma_f32 v16, v31, s6, -v16
	v_add_f32_e32 v17, v22, v17
	v_mov_b32_e32 v22, v45
	v_add_f32_e32 v16, v16, v42
	v_fma_f32 v42, v33, s5, -v43
	v_fmac_f32_e32 v22, 0xbf788fa5, v7
	v_mul_f32_e32 v46, 0x3eedf032, v37
	v_add_f32_e32 v16, v42, v16
	v_fma_f32 v42, v7, s11, -v45
	v_add_f32_e32 v17, v22, v17
	v_mov_b32_e32 v22, v46
	v_mul_f32_e32 v47, 0xbf6f5d39, v59
	v_add_f32_e32 v16, v42, v16
	v_fma_f32 v42, v26, s4, -v46
	v_fmac_f32_e32 v22, 0x3f62ad3f, v26
	v_add_f32_e32 v16, v42, v16
	v_fma_f32 v42, v56, s7, -v47
	v_mul_f32_e32 v39, 0x3eedf032, v39
	v_add_f32_e32 v17, v22, v17
	v_mov_b32_e32 v22, v47
	v_add_f32_e32 v16, v42, v16
	v_mov_b32_e32 v42, v39
	v_fmac_f32_e32 v22, 0xbeb58ec6, v56
	v_fmac_f32_e32 v42, 0x3f62ad3f, v31
	v_mul_f32_e32 v41, 0xbf29c268, v41
	v_add_f32_e32 v22, v22, v17
	v_mul_f32_e32 v17, 0x3df6dbef, v38
	v_add_f32_e32 v42, v42, v44
	v_mul_f32_e32 v38, 0x3f62ad3f, v38
	v_mov_b32_e32 v44, v41
	v_mul_f32_e32 v48, 0x3f116cb1, v40
	v_mov_b32_e32 v43, v38
	v_fmac_f32_e32 v44, 0xbf3f9e67, v33
	v_mul_f32_e32 v40, 0xbf3f9e67, v40
	v_fmac_f32_e32 v43, 0xbeedf032, v28
	v_add_f32_e32 v42, v44, v42
	v_mov_b32_e32 v44, v40
	v_add_f32_e32 v43, v43, v53
	v_fmac_f32_e32 v44, 0x3f29c268, v29
	v_add_f32_e32 v43, v44, v43
	v_mul_f32_e32 v44, 0x3f52af12, v25
	v_mov_b32_e32 v23, v17
	v_mov_b32_e32 v25, v44
	v_fmac_f32_e32 v23, 0xbf7e222b, v28
	v_mov_b32_e32 v49, v48
	v_fmac_f32_e32 v25, 0x3f116cb1, v7
	v_add_f32_e32 v23, v23, v51
	v_fmac_f32_e32 v49, 0x3f52af12, v29
	v_add_f32_e32 v25, v25, v42
	v_mul_f32_e32 v42, 0x3f116cb1, v24
	v_add_f32_e32 v23, v49, v23
	v_mul_f32_e32 v49, 0xbf788fa5, v24
	v_mov_b32_e32 v24, v42
	v_fma_f32 v31, v31, s4, -v39
	v_mov_b32_e32 v50, v49
	v_fmac_f32_e32 v24, 0xbf52af12, v6
	v_mul_f32_e32 v37, 0xbf6f5d39, v37
	v_add_f32_e32 v31, v31, v54
	v_fma_f32 v33, v33, s10, -v41
	v_fmac_f32_e32 v50, 0xbe750f2a, v6
	v_add_f32_e32 v24, v24, v43
	v_mov_b32_e32 v43, v37
	v_add_f32_e32 v31, v33, v31
	v_fma_f32 v7, v7, s5, -v44
	v_add_f32_e32 v23, v50, v23
	v_mul_f32_e32 v50, 0x3f62ad3f, v30
	v_fmac_f32_e32 v43, 0xbeb58ec6, v26
	v_mul_f32_e32 v45, 0x3f7e222b, v59
	v_add_f32_e32 v7, v7, v31
	v_fma_f32 v26, v26, s7, -v37
	v_mov_b32_e32 v51, v50
	v_fmac_f32_e32 v17, 0x3f7e222b, v28
	v_mul_f32_e32 v30, 0xbeb58ec6, v30
	v_add_f32_e32 v7, v26, v7
	v_fma_f32 v26, v56, s6, -v45
	v_fmac_f32_e32 v38, 0x3eedf032, v28
	v_fmac_f32_e32 v51, 0xbeedf032, v27
	v_add_f32_e32 v17, v17, v52
	v_fmac_f32_e32 v48, 0xbf52af12, v29
	v_add_f32_e32 v25, v43, v25
	v_mov_b32_e32 v43, v30
	v_add_f32_e32 v26, v26, v7
	v_add_f32_e32 v7, v38, v55
	v_fmac_f32_e32 v40, 0xbf29c268, v29
	v_add_f32_e32 v23, v51, v23
	v_mul_f32_e32 v51, 0xbeb58ec6, v57
	v_add_f32_e32 v17, v48, v17
	v_fmac_f32_e32 v49, 0x3e750f2a, v6
	v_fmac_f32_e32 v43, 0x3f6f5d39, v27
	v_mul_f32_e32 v46, 0x3df6dbef, v57
	v_add_f32_e32 v7, v40, v7
	v_fmac_f32_e32 v42, 0x3f52af12, v6
	v_mov_b32_e32 v60, v51
	v_add_f32_e32 v17, v49, v17
	v_fmac_f32_e32 v50, 0x3eedf032, v27
	v_add_f32_e32 v43, v43, v24
	v_mov_b32_e32 v24, v45
	v_mov_b32_e32 v47, v46
	v_add_f32_e32 v6, v42, v7
	v_fmac_f32_e32 v30, 0xbf6f5d39, v27
	v_fmac_f32_e32 v61, 0xbf52af12, v58
	;; [unrolled: 1-line block ×3, first 2 shown]
	v_add_f32_e32 v17, v50, v17
	v_fmac_f32_e32 v51, 0xbf6f5d39, v58
	v_fmac_f32_e32 v24, 0x3df6dbef, v56
	;; [unrolled: 1-line block ×3, first 2 shown]
	v_add_f32_e32 v6, v30, v6
	v_fmac_f32_e32 v46, 0x3f7e222b, v58
	s_movk_i32 s4, 0x50
	v_add_f32_e32 v21, v61, v21
	v_add_f32_e32 v23, v60, v23
	v_add_f32_e32 v17, v51, v17
	v_add_f32_e32 v24, v24, v25
	v_add_f32_e32 v25, v47, v43
	v_add_f32_e32 v27, v46, v6
	v_cmp_gt_u32_e32 vcc, s4, v32
	s_barrier
	s_and_saveexec_b64 s[4:5], vcc
	s_cbranch_execz .LBB0_13
; %bb.12:
	s_movk_i32 s6, 0x60
	v_mad_u32_u24 v6, v32, s6, v36
	ds_write2_b64 v6, v[0:1], v[2:3] offset1:1
	ds_write2_b64 v6, v[8:9], v[10:11] offset0:2 offset1:3
	ds_write2_b64 v6, v[20:21], v[22:23] offset0:4 offset1:5
	;; [unrolled: 1-line block ×5, first 2 shown]
	ds_write_b64 v6, v[4:5] offset:96
.LBB0_13:
	s_or_b64 exec, exec, s[4:5]
	s_movk_i32 s4, 0x41
	v_cmp_gt_u32_e32 vcc, s4, v32
	s_waitcnt lgkmcnt(0)
	s_barrier
	s_waitcnt lgkmcnt(0)
                                        ; implicit-def: $vgpr29
	s_and_saveexec_b64 s[4:5], vcc
	s_cbranch_execz .LBB0_15
; %bb.14:
	v_add_u32_e32 v4, 0x800, v36
	ds_read2_b64 v[0:3], v36 offset1:65
	ds_read2_b64 v[8:11], v36 offset0:130 offset1:195
	ds_read2_b64 v[20:23], v4 offset0:4 offset1:69
	;; [unrolled: 1-line block ×3, first 2 shown]
	v_add_u32_e32 v4, 0x1000, v36
	v_add_u32_e32 v28, 0x1800, v36
	ds_read2_b64 v[16:19], v4 offset0:8 offset1:73
	ds_read2_b64 v[12:15], v4 offset0:138 offset1:203
	;; [unrolled: 1-line block ×4, first 2 shown]
.LBB0_15:
	s_or_b64 exec, exec, s[4:5]
	s_waitcnt lgkmcnt(0)
	s_barrier
	s_and_saveexec_b64 s[4:5], vcc
	s_cbranch_execz .LBB0_17
; %bb.16:
	s_movk_i32 s6, 0x4f
	v_mul_lo_u16_sdwa v33, v32, s6 dst_sel:DWORD dst_unused:UNUSED_PAD src0_sel:BYTE_0 src1_sel:DWORD
	v_lshrrev_b16_e32 v33, 10, v33
	v_mul_lo_u16_e32 v37, 13, v33
	v_sub_u16_e32 v51, v32, v37
	v_mov_b32_e32 v37, 15
	v_mul_u32_u24_sdwa v37, v51, v37 dst_sel:DWORD dst_unused:UNUSED_PAD src0_sel:BYTE_0 src1_sel:DWORD
	v_lshlrev_b32_e32 v52, 3, v37
	global_load_dwordx4 v[37:40], v52, s[8:9] offset:32
	global_load_dwordx4 v[41:44], v52, s[8:9] offset:96
	global_load_dwordx2 v[49:50], v52, s[8:9] offset:112
	global_load_dwordx4 v[45:48], v52, s[8:9] offset:48
	v_mul_u32_u24_e32 v33, 0xd0, v33
	v_or_b32_sdwa v33, v33, v51 dst_sel:DWORD dst_unused:UNUSED_PAD src0_sel:DWORD src1_sel:BYTE_0
	v_lshl_add_u32 v33, v33, 3, 0
	s_waitcnt vmcnt(3)
	v_mul_f32_e32 v53, v25, v40
	s_waitcnt vmcnt(2)
	v_mul_f32_e32 v54, v29, v44
	v_mul_f32_e32 v40, v24, v40
	;; [unrolled: 1-line block ×3, first 2 shown]
	s_waitcnt vmcnt(1)
	v_mul_f32_e32 v55, v31, v50
	v_mul_f32_e32 v56, v23, v38
	;; [unrolled: 1-line block ×4, first 2 shown]
	v_fmac_f32_e32 v53, v24, v39
	v_fmac_f32_e32 v54, v28, v43
	v_fma_f32 v39, v25, v39, -v40
	v_fma_f32 v40, v29, v43, -v44
	v_fmac_f32_e32 v55, v30, v49
	v_fmac_f32_e32 v56, v22, v37
	v_fma_f32 v43, v31, v49, -v50
	v_fma_f32 v37, v23, v37, -v38
	global_load_dwordx4 v[22:25], v52, s[8:9]
	global_load_dwordx4 v[28:31], v52, s[8:9] offset:16
	s_waitcnt vmcnt(1)
	v_mul_f32_e32 v38, v8, v25
	s_waitcnt vmcnt(0)
	v_mul_f32_e32 v44, v21, v31
	v_mul_f32_e32 v31, v20, v31
	v_fmac_f32_e32 v44, v20, v30
	v_fma_f32 v20, v21, v30, -v31
	v_mul_f32_e32 v21, v9, v25
	v_mul_f32_e32 v25, v10, v29
	;; [unrolled: 1-line block ×3, first 2 shown]
	v_fma_f32 v38, v9, v24, -v38
	v_fma_f32 v25, v11, v28, -v25
	v_fmac_f32_e32 v49, v10, v28
	global_load_dwordx4 v[28:31], v52, s[8:9] offset:64
	v_fmac_f32_e32 v21, v8, v24
	global_load_dwordx4 v[8:11], v52, s[8:9] offset:80
	v_mul_f32_e32 v24, v27, v46
	v_mul_f32_e32 v46, v26, v46
	v_fmac_f32_e32 v24, v26, v45
	v_fma_f32 v26, v27, v45, -v46
	s_waitcnt vmcnt(1)
	v_mul_f32_e32 v27, v12, v31
	v_mul_f32_e32 v31, v13, v31
	s_waitcnt vmcnt(0)
	v_mul_f32_e32 v45, v14, v9
	v_mul_f32_e32 v9, v15, v9
	v_fma_f32 v13, v13, v30, -v27
	v_fmac_f32_e32 v31, v12, v30
	v_fma_f32 v12, v15, v8, -v45
	v_mul_f32_e32 v15, v7, v42
	v_mul_f32_e32 v27, v6, v42
	v_fmac_f32_e32 v15, v6, v41
	v_fma_f32 v6, v7, v41, -v27
	v_mul_f32_e32 v7, v2, v23
	v_mul_f32_e32 v23, v3, v23
	v_fmac_f32_e32 v9, v14, v8
	v_mul_f32_e32 v8, v16, v48
	v_mul_f32_e32 v14, v5, v11
	;; [unrolled: 1-line block ×3, first 2 shown]
	v_fmac_f32_e32 v23, v2, v22
	v_mul_f32_e32 v2, v19, v29
	v_fma_f32 v8, v17, v47, -v8
	v_fmac_f32_e32 v14, v4, v10
	v_fma_f32 v10, v5, v10, -v11
	v_fmac_f32_e32 v2, v18, v28
	v_mul_f32_e32 v27, v18, v29
	v_sub_f32_e32 v8, v1, v8
	v_sub_f32_e32 v18, v23, v2
	;; [unrolled: 1-line block ×3, first 2 shown]
	v_mul_f32_e32 v2, v17, v48
	v_fma_f32 v7, v3, v22, -v7
	v_fma_f32 v4, v19, v28, -v27
	v_sub_f32_e32 v11, v38, v13
	v_sub_f32_e32 v13, v53, v54
	v_sub_f32_e32 v14, v44, v14
	v_sub_f32_e32 v30, v21, v31
	v_fmac_f32_e32 v2, v16, v47
	v_fma_f32 v17, v1, 2.0, -v8
	v_fma_f32 v1, v20, 2.0, -v10
	v_sub_f32_e32 v27, v39, v40
	v_sub_f32_e32 v12, v25, v12
	;; [unrolled: 1-line block ×9, first 2 shown]
	v_fma_f32 v21, v21, 2.0, -v30
	v_fma_f32 v1, v53, 2.0, -v13
	v_sub_f32_e32 v31, v24, v55
	v_sub_f32_e32 v9, v49, v9
	v_sub_f32_e32 v42, v11, v13
	v_add_f32_e32 v45, v30, v27
	v_sub_f32_e32 v50, v40, v15
	v_mov_b32_e32 v54, v43
	v_add_f32_e32 v19, v18, v6
	v_add_f32_e32 v28, v16, v10
	v_sub_f32_e32 v47, v21, v1
	v_fma_f32 v1, v37, 2.0, -v6
	v_fma_f32 v25, v25, 2.0, -v12
	;; [unrolled: 1-line block ×3, first 2 shown]
	v_sub_f32_e32 v46, v12, v31
	v_add_f32_e32 v52, v9, v41
	v_fmac_f32_e32 v54, 0x3f3504f3, v42
	v_mov_b32_e32 v22, v19
	v_mov_b32_e32 v29, v28
	v_sub_f32_e32 v26, v25, v6
	v_fma_f32 v23, v23, 2.0, -v18
	v_fma_f32 v6, v56, 2.0, -v15
	;; [unrolled: 1-line block ×4, first 2 shown]
	v_mov_b32_e32 v55, v50
	v_fmac_f32_e32 v54, 0xbf3504f3, v45
	v_fmac_f32_e32 v22, 0x3f3504f3, v52
	;; [unrolled: 1-line block ×3, first 2 shown]
	v_fma_f32 v53, v7, 2.0, -v40
	v_sub_f32_e32 v41, v23, v6
	v_fma_f32 v15, v38, 2.0, -v11
	v_fma_f32 v6, v39, 2.0, -v27
	;; [unrolled: 1-line block ×5, first 2 shown]
	v_mov_b32_e32 v40, v30
	v_fma_f32 v45, v18, 2.0, -v19
	v_fmac_f32_e32 v55, 0x3f3504f3, v46
	v_fmac_f32_e32 v22, 0x3f3504f3, v46
	v_sub_f32_e32 v37, v53, v1
	v_fma_f32 v13, v49, 2.0, -v9
	v_fma_f32 v1, v24, 2.0, -v31
	v_sub_f32_e32 v27, v15, v6
	v_fmac_f32_e32 v40, 0xbf3504f3, v11
	v_fma_f32 v12, v9, 2.0, -v52
	v_mov_b32_e32 v46, v45
	v_fmac_f32_e32 v55, 0xbf3504f3, v52
	v_sub_f32_e32 v24, v13, v1
	v_fma_f32 v38, v0, 2.0, -v16
	v_fmac_f32_e32 v40, 0xbf3504f3, v12
	v_fmac_f32_e32 v46, 0xbf3504f3, v12
	v_fma_f32 v52, v16, 2.0, -v28
	v_fma_f32 v58, v17, 2.0, -v20
	v_fma_f32 v12, v15, 2.0, -v27
	v_fma_f32 v16, v43, 2.0, -v54
	v_mov_b32_e32 v3, v54
	v_fmac_f32_e32 v29, 0x3f3504f3, v42
	v_sub_f32_e32 v59, v58, v12
	v_fma_f32 v60, v23, 2.0, -v41
	v_fma_f32 v12, v13, 2.0, -v24
	;; [unrolled: 1-line block ×3, first 2 shown]
	v_mov_b32_e32 v17, v16
	v_fmac_f32_e32 v3, 0x3f6c835e, v55
	v_mov_b32_e32 v2, v29
	v_sub_f32_e32 v61, v60, v12
	v_fma_f32 v12, v21, 2.0, -v47
	v_fmac_f32_e32 v17, 0xbec3ef15, v18
	v_fma_f32 v21, v19, 2.0, -v22
	v_fmac_f32_e32 v3, 0xbec3ef15, v22
	v_fmac_f32_e32 v2, 0x3f6c835e, v22
	;; [unrolled: 1-line block ×3, first 2 shown]
	v_fma_f32 v22, v28, 2.0, -v29
	v_fma_f32 v19, v16, 2.0, -v17
	v_mov_b32_e32 v16, v22
	v_sub_f32_e32 v48, v20, v47
	v_fmac_f32_e32 v16, 0xbec3ef15, v21
	v_sub_f32_e32 v31, v37, v24
	v_fma_f32 v0, v44, 2.0, -v14
	v_fmac_f32_e32 v16, 0x3f6c835e, v18
	v_fma_f32 v20, v20, 2.0, -v48
	v_add_f32_e32 v49, v41, v26
	v_sub_f32_e32 v39, v38, v0
	v_fma_f32 v18, v22, 2.0, -v16
	v_fma_f32 v22, v37, 2.0, -v31
	v_mov_b32_e32 v21, v20
	v_add_f32_e32 v44, v39, v27
	v_fma_f32 v38, v38, 2.0, -v39
	v_fmac_f32_e32 v21, 0xbf3504f3, v22
	v_fma_f32 v24, v41, 2.0, -v49
	v_mov_b32_e32 v42, v56
	v_sub_f32_e32 v47, v38, v12
	v_fma_f32 v12, v25, 2.0, -v26
	v_fmac_f32_e32 v21, 0xbf3504f3, v24
	v_fma_f32 v25, v39, 2.0, -v44
	v_fmac_f32_e32 v42, 0xbf3504f3, v8
	v_fma_f32 v23, v20, 2.0, -v21
	v_mov_b32_e32 v20, v25
	v_fmac_f32_e32 v42, 0xbf3504f3, v10
	v_fmac_f32_e32 v20, 0xbf3504f3, v24
	v_mov_b32_e32 v57, v52
	v_fmac_f32_e32 v20, 0x3f3504f3, v22
	v_fma_f32 v24, v56, 2.0, -v42
	v_fmac_f32_e32 v46, 0x3f3504f3, v11
	v_fmac_f32_e32 v57, 0xbf3504f3, v10
	v_fma_f32 v22, v25, 2.0, -v20
	v_fma_f32 v26, v30, 2.0, -v40
	v_mov_b32_e32 v25, v24
	v_fmac_f32_e32 v2, 0x3ec3ef15, v55
	v_fmac_f32_e32 v57, 0x3f3504f3, v8
	;; [unrolled: 1-line block ×3, first 2 shown]
	v_fma_f32 v28, v45, 2.0, -v46
	v_fma_f32 v4, v29, 2.0, -v2
	v_fmac_f32_e32 v25, 0xbec3ef15, v28
	v_fma_f32 v29, v52, 2.0, -v57
	v_fma_f32 v27, v24, 2.0, -v25
	v_mov_b32_e32 v24, v29
	v_fma_f32 v53, v53, 2.0, -v37
	v_fmac_f32_e32 v24, 0xbf6c835e, v28
	v_sub_f32_e32 v62, v53, v12
	v_fmac_f32_e32 v24, 0x3ec3ef15, v26
	v_mov_b32_e32 v0, v44
	v_fma_f32 v26, v29, 2.0, -v24
	v_fma_f32 v28, v58, 2.0, -v59
	;; [unrolled: 1-line block ×3, first 2 shown]
	v_mov_b32_e32 v1, v48
	v_fmac_f32_e32 v0, 0x3f3504f3, v49
	v_sub_f32_e32 v29, v28, v29
	v_fmac_f32_e32 v1, 0x3f3504f3, v31
	v_fmac_f32_e32 v0, 0x3f3504f3, v31
	v_mov_b32_e32 v9, v42
	v_mov_b32_e32 v8, v57
	v_fma_f32 v31, v28, 2.0, -v29
	v_fma_f32 v30, v38, 2.0, -v47
	;; [unrolled: 1-line block ×3, first 2 shown]
	v_fmac_f32_e32 v9, 0x3ec3ef15, v40
	v_fmac_f32_e32 v8, 0x3ec3ef15, v46
	v_sub_f32_e32 v28, v30, v28
	v_fmac_f32_e32 v1, 0xbf3504f3, v49
	v_fmac_f32_e32 v9, 0xbf6c835e, v46
	v_fmac_f32_e32 v8, 0x3f6c835e, v40
	v_sub_f32_e32 v13, v59, v61
	v_add_f32_e32 v12, v47, v62
	v_fma_f32 v30, v30, 2.0, -v28
	v_fma_f32 v5, v54, 2.0, -v3
	;; [unrolled: 1-line block ×8, first 2 shown]
	ds_write2_b64 v33, v[30:31], v[26:27] offset1:13
	ds_write2_b64 v33, v[22:23], v[18:19] offset0:26 offset1:39
	ds_write2_b64 v33, v[14:15], v[10:11] offset0:52 offset1:65
	;; [unrolled: 1-line block ×7, first 2 shown]
.LBB0_17:
	s_or_b64 exec, exec, s[4:5]
	v_lshlrev_b32_e32 v0, 2, v32
	v_mov_b32_e32 v1, 0
	v_lshlrev_b64 v[2:3], 3, v[0:1]
	v_mov_b32_e32 v0, s9
	v_add_co_u32_e32 v10, vcc, s8, v2
	v_addc_co_u32_e32 v11, vcc, v0, v3, vcc
	s_waitcnt lgkmcnt(0)
	s_barrier
	global_load_dwordx4 v[2:5], v[10:11], off offset:1560
	global_load_dwordx4 v[6:9], v[10:11], off offset:1576
	v_add_u32_e32 v0, 0x600, v36
	ds_read2_b64 v[10:13], v0 offset0:16 offset1:224
	ds_read2_b32 v[18:19], v36 offset1:1
	v_add_u32_e32 v0, 0x1300, v36
	ds_read2_b64 v[14:17], v0 offset0:16 offset1:224
	s_waitcnt vmcnt(0) lgkmcnt(0)
	s_barrier
	s_add_u32 s6, s8, 0x2018
	s_addc_u32 s7, s9, 0
	v_cmp_ne_u32_e32 vcc, 0, v32
	v_mul_f32_e32 v0, v3, v11
	v_mul_f32_e32 v3, v3, v10
	;; [unrolled: 1-line block ×8, first 2 shown]
	v_fmac_f32_e32 v0, v2, v10
	v_fma_f32 v2, v2, v11, -v3
	v_fmac_f32_e32 v20, v4, v12
	v_fma_f32 v3, v4, v13, -v5
	v_fmac_f32_e32 v21, v6, v14
	v_fma_f32 v5, v6, v15, -v7
	v_fmac_f32_e32 v22, v8, v16
	v_fma_f32 v9, v8, v17, -v9
	v_add_f32_e32 v4, v0, v18
	v_add_f32_e32 v6, v20, v21
	v_sub_f32_e32 v7, v0, v20
	v_sub_f32_e32 v8, v22, v21
	v_add_f32_e32 v12, v0, v22
	v_add_f32_e32 v15, v19, v2
	;; [unrolled: 1-line block ×4, first 2 shown]
	v_sub_f32_e32 v10, v2, v9
	v_sub_f32_e32 v11, v3, v5
	;; [unrolled: 1-line block ×6, first 2 shown]
	v_add_f32_e32 v4, v4, v20
	v_fma_f32 v2, -0.5, v6, v18
	v_add_f32_e32 v20, v7, v8
	v_fma_f32 v18, -0.5, v12, v18
	;; [unrolled: 2-line block ×3, first 2 shown]
	v_fmac_f32_e32 v19, -0.5, v25
	v_sub_f32_e32 v0, v0, v22
	v_sub_f32_e32 v24, v9, v5
	;; [unrolled: 1-line block ×3, first 2 shown]
	v_add_f32_e32 v8, v4, v21
	v_mov_b32_e32 v4, v2
	v_mov_b32_e32 v6, v18
	v_add_f32_e32 v15, v7, v5
	v_mov_b32_e32 v5, v3
	v_mov_b32_e32 v7, v19
	v_sub_f32_e32 v14, v21, v22
	v_fmac_f32_e32 v2, 0x3f737871, v10
	v_fmac_f32_e32 v18, 0xbf737871, v11
	;; [unrolled: 1-line block ×8, first 2 shown]
	v_add_f32_e32 v12, v13, v14
	v_add_f32_e32 v13, v23, v24
	;; [unrolled: 1-line block ×3, first 2 shown]
	v_fmac_f32_e32 v2, 0x3f167918, v11
	v_fmac_f32_e32 v18, 0x3f167918, v10
	;; [unrolled: 1-line block ×8, first 2 shown]
	v_add_f32_e32 v8, v8, v22
	v_add_f32_e32 v9, v15, v9
	v_fmac_f32_e32 v2, 0x3e9e377a, v20
	v_fmac_f32_e32 v18, 0x3e9e377a, v12
	;; [unrolled: 1-line block ×8, first 2 shown]
	v_add_u32_e32 v0, 0xc00, v36
	ds_write2_b64 v36, v[8:9], v[4:5] offset1:208
	ds_write2_b64 v0, v[6:7], v[18:19] offset0:32 offset1:240
	ds_write_b64 v36, v[2:3] offset:6656
	s_waitcnt lgkmcnt(0)
	s_barrier
	ds_read_b64 v[2:3], v36
	v_lshlrev_b32_e32 v0, 3, v32
	v_sub_u32_e32 v6, 0, v0
                                        ; implicit-def: $vgpr8
                                        ; implicit-def: $vgpr7
                                        ; implicit-def: $vgpr4_vgpr5
	s_and_saveexec_b64 s[4:5], vcc
	s_xor_b64 s[4:5], exec, s[4:5]
	s_cbranch_execz .LBB0_19
; %bb.18:
	v_mov_b32_e32 v33, v1
	v_lshlrev_b64 v[0:1], 3, v[32:33]
	v_mov_b32_e32 v4, s7
	v_add_co_u32_e32 v0, vcc, s6, v0
	v_addc_co_u32_e32 v1, vcc, v4, v1, vcc
	global_load_dwordx2 v[0:1], v[0:1], off
	ds_read_b64 v[4:5], v6 offset:8320
	s_waitcnt lgkmcnt(0)
	v_add_f32_e32 v8, v4, v2
	v_sub_f32_e32 v2, v2, v4
	v_add_f32_e32 v7, v5, v3
	v_sub_f32_e32 v3, v3, v5
	v_mul_f32_e32 v2, 0.5, v2
	v_mul_f32_e32 v4, 0.5, v7
	;; [unrolled: 1-line block ×3, first 2 shown]
	s_waitcnt vmcnt(0)
	v_mul_f32_e32 v5, v1, v2
	v_fma_f32 v9, v4, v1, v3
	v_fma_f32 v1, v4, v1, -v3
	v_fma_f32 v7, 0.5, v8, v5
	v_fma_f32 v5, v8, 0.5, -v5
	v_fma_f32 v3, -v0, v2, v9
	v_fma_f32 v1, -v0, v2, v1
	v_fmac_f32_e32 v7, v0, v4
	v_fma_f32 v8, -v0, v4, v5
	v_mov_b32_e32 v4, v32
	ds_write_b32 v36, v3 offset:4
	ds_write_b32 v6, v1 offset:8324
	v_mov_b32_e32 v5, v33
                                        ; implicit-def: $vgpr2_vgpr3
.LBB0_19:
	s_andn2_saveexec_b64 s[4:5], s[4:5]
	s_cbranch_execz .LBB0_21
; %bb.20:
	v_mov_b32_e32 v0, 0
	ds_write_b32 v36, v0 offset:4
	ds_write_b32 v6, v0 offset:8324
	ds_read_b32 v1, v0 offset:4164
	v_mov_b32_e32 v4, 0
	s_waitcnt lgkmcnt(3)
	v_add_f32_e32 v7, v2, v3
	v_sub_f32_e32 v8, v2, v3
	v_mov_b32_e32 v5, 0
	s_waitcnt lgkmcnt(0)
	v_xor_b32_e32 v1, 0x80000000, v1
	ds_write_b32 v0, v1 offset:4164
.LBB0_21:
	s_or_b64 exec, exec, s[4:5]
	v_lshlrev_b64 v[0:1], 3, v[4:5]
	s_waitcnt lgkmcnt(0)
	v_mov_b32_e32 v3, s7
	v_add_co_u32_e32 v2, vcc, s6, v0
	v_addc_co_u32_e32 v3, vcc, v3, v1, vcc
	global_load_dwordx2 v[4:5], v[2:3], off offset:1664
	ds_write_b32 v36, v7
	ds_write_b32 v6, v8 offset:8320
	ds_read_b64 v[7:8], v36 offset:1664
	ds_read_b64 v[9:10], v6 offset:6656
	s_movk_i32 s4, 0x68
	v_cmp_gt_u32_e32 vcc, s4, v32
	s_waitcnt lgkmcnt(0)
	v_add_f32_e32 v11, v7, v9
	v_sub_f32_e32 v7, v7, v9
	v_add_f32_e32 v12, v8, v10
	v_sub_f32_e32 v8, v8, v10
	v_mul_f32_e32 v10, 0.5, v7
	v_mul_f32_e32 v9, 0.5, v12
	v_mul_f32_e32 v7, 0.5, v8
	s_waitcnt vmcnt(0)
	v_mul_f32_e32 v12, v5, v10
	v_fma_f32 v8, v9, v5, v7
	v_fma_f32 v5, v9, v5, -v7
	v_fma_f32 v7, 0.5, v11, v12
	v_fma_f32 v8, -v4, v10, v8
	v_fma_f32 v11, v11, 0.5, -v12
	v_fmac_f32_e32 v7, v4, v9
	v_fma_f32 v5, -v4, v10, v5
	v_fma_f32 v4, -v4, v9, v11
	ds_write_b64 v36, v[7:8] offset:1664
	ds_write_b64 v6, v[4:5] offset:6656
	s_and_saveexec_b64 s[4:5], vcc
	s_cbranch_execz .LBB0_23
; %bb.22:
	global_load_dwordx2 v[2:3], v[2:3], off offset:3328
	ds_read_b64 v[4:5], v36 offset:3328
	ds_read_b64 v[7:8], v6 offset:4992
	s_waitcnt lgkmcnt(0)
	v_add_f32_e32 v9, v4, v7
	v_sub_f32_e32 v4, v4, v7
	v_add_f32_e32 v10, v5, v8
	v_sub_f32_e32 v5, v5, v8
	v_mul_f32_e32 v8, 0.5, v4
	v_mul_f32_e32 v7, 0.5, v10
	v_mul_f32_e32 v4, 0.5, v5
	s_waitcnt vmcnt(0)
	v_mul_f32_e32 v5, v3, v8
	v_fma_f32 v10, v7, v3, v4
	v_fma_f32 v11, v7, v3, -v4
	v_fma_f32 v3, 0.5, v9, v5
	v_fma_f32 v4, -v2, v8, v10
	v_fma_f32 v5, v9, 0.5, -v5
	v_fmac_f32_e32 v3, v2, v7
	v_fma_f32 v8, -v2, v8, v11
	v_fma_f32 v7, -v2, v7, v5
	ds_write_b64 v36, v[3:4] offset:3328
	ds_write_b64 v6, v[7:8] offset:4992
.LBB0_23:
	s_or_b64 exec, exec, s[4:5]
	s_waitcnt lgkmcnt(0)
	s_barrier
	s_and_saveexec_b64 s[4:5], s[0:1]
	s_cbranch_execz .LBB0_26
; %bb.24:
	ds_read2_b64 v[4:7], v36 offset1:208
	v_mov_b32_e32 v2, s3
	v_add_co_u32_e32 v3, vcc, s2, v34
	v_add_u32_e32 v8, 0xc00, v36
	v_addc_co_u32_e32 v2, vcc, v2, v35, vcc
	ds_read2_b64 v[8:11], v8 offset0:32 offset1:240
	v_add_co_u32_e32 v0, vcc, v3, v0
	v_addc_co_u32_e32 v1, vcc, v2, v1, vcc
	s_waitcnt lgkmcnt(1)
	global_store_dwordx2 v[0:1], v[4:5], off
	global_store_dwordx2 v[0:1], v[6:7], off offset:1664
	s_waitcnt lgkmcnt(0)
	global_store_dwordx2 v[0:1], v[8:9], off offset:3328
	ds_read_b64 v[4:5], v36 offset:6656
	v_add_co_u32_e32 v0, vcc, 0x1000, v0
	v_addc_co_u32_e32 v1, vcc, 0, v1, vcc
	s_movk_i32 s0, 0xcf
	v_cmp_eq_u32_e32 vcc, s0, v32
	global_store_dwordx2 v[0:1], v[10:11], off offset:896
	s_waitcnt lgkmcnt(0)
	global_store_dwordx2 v[0:1], v[4:5], off offset:2560
	s_and_b64 exec, exec, vcc
	s_cbranch_execz .LBB0_26
; %bb.25:
	v_mov_b32_e32 v0, 0
	ds_read_b64 v[0:1], v0 offset:8320
	v_add_co_u32_e32 v3, vcc, 0x2000, v3
	v_addc_co_u32_e32 v4, vcc, 0, v2, vcc
	s_waitcnt lgkmcnt(0)
	global_store_dwordx2 v[3:4], v[0:1], off offset:128
.LBB0_26:
	s_endpgm
	.section	.rodata,"a",@progbits
	.p2align	6, 0x0
	.amdhsa_kernel fft_rtc_back_len1040_factors_13_16_5_wgs_208_tpt_208_halfLds_sp_ip_CI_unitstride_sbrr_R2C_dirReg
		.amdhsa_group_segment_fixed_size 0
		.amdhsa_private_segment_fixed_size 0
		.amdhsa_kernarg_size 88
		.amdhsa_user_sgpr_count 6
		.amdhsa_user_sgpr_private_segment_buffer 1
		.amdhsa_user_sgpr_dispatch_ptr 0
		.amdhsa_user_sgpr_queue_ptr 0
		.amdhsa_user_sgpr_kernarg_segment_ptr 1
		.amdhsa_user_sgpr_dispatch_id 0
		.amdhsa_user_sgpr_flat_scratch_init 0
		.amdhsa_user_sgpr_private_segment_size 0
		.amdhsa_uses_dynamic_stack 0
		.amdhsa_system_sgpr_private_segment_wavefront_offset 0
		.amdhsa_system_sgpr_workgroup_id_x 1
		.amdhsa_system_sgpr_workgroup_id_y 0
		.amdhsa_system_sgpr_workgroup_id_z 0
		.amdhsa_system_sgpr_workgroup_info 0
		.amdhsa_system_vgpr_workitem_id 0
		.amdhsa_next_free_vgpr 63
		.amdhsa_next_free_sgpr 22
		.amdhsa_reserve_vcc 1
		.amdhsa_reserve_flat_scratch 0
		.amdhsa_float_round_mode_32 0
		.amdhsa_float_round_mode_16_64 0
		.amdhsa_float_denorm_mode_32 3
		.amdhsa_float_denorm_mode_16_64 3
		.amdhsa_dx10_clamp 1
		.amdhsa_ieee_mode 1
		.amdhsa_fp16_overflow 0
		.amdhsa_exception_fp_ieee_invalid_op 0
		.amdhsa_exception_fp_denorm_src 0
		.amdhsa_exception_fp_ieee_div_zero 0
		.amdhsa_exception_fp_ieee_overflow 0
		.amdhsa_exception_fp_ieee_underflow 0
		.amdhsa_exception_fp_ieee_inexact 0
		.amdhsa_exception_int_div_zero 0
	.end_amdhsa_kernel
	.text
.Lfunc_end0:
	.size	fft_rtc_back_len1040_factors_13_16_5_wgs_208_tpt_208_halfLds_sp_ip_CI_unitstride_sbrr_R2C_dirReg, .Lfunc_end0-fft_rtc_back_len1040_factors_13_16_5_wgs_208_tpt_208_halfLds_sp_ip_CI_unitstride_sbrr_R2C_dirReg
                                        ; -- End function
	.section	.AMDGPU.csdata,"",@progbits
; Kernel info:
; codeLenInByte = 7448
; NumSgprs: 26
; NumVgprs: 63
; ScratchSize: 0
; MemoryBound: 0
; FloatMode: 240
; IeeeMode: 1
; LDSByteSize: 0 bytes/workgroup (compile time only)
; SGPRBlocks: 3
; VGPRBlocks: 15
; NumSGPRsForWavesPerEU: 26
; NumVGPRsForWavesPerEU: 63
; Occupancy: 4
; WaveLimiterHint : 1
; COMPUTE_PGM_RSRC2:SCRATCH_EN: 0
; COMPUTE_PGM_RSRC2:USER_SGPR: 6
; COMPUTE_PGM_RSRC2:TRAP_HANDLER: 0
; COMPUTE_PGM_RSRC2:TGID_X_EN: 1
; COMPUTE_PGM_RSRC2:TGID_Y_EN: 0
; COMPUTE_PGM_RSRC2:TGID_Z_EN: 0
; COMPUTE_PGM_RSRC2:TIDIG_COMP_CNT: 0
	.type	__hip_cuid_9657d8a124f6a396,@object ; @__hip_cuid_9657d8a124f6a396
	.section	.bss,"aw",@nobits
	.globl	__hip_cuid_9657d8a124f6a396
__hip_cuid_9657d8a124f6a396:
	.byte	0                               ; 0x0
	.size	__hip_cuid_9657d8a124f6a396, 1

	.ident	"AMD clang version 19.0.0git (https://github.com/RadeonOpenCompute/llvm-project roc-6.4.0 25133 c7fe45cf4b819c5991fe208aaa96edf142730f1d)"
	.section	".note.GNU-stack","",@progbits
	.addrsig
	.addrsig_sym __hip_cuid_9657d8a124f6a396
	.amdgpu_metadata
---
amdhsa.kernels:
  - .args:
      - .actual_access:  read_only
        .address_space:  global
        .offset:         0
        .size:           8
        .value_kind:     global_buffer
      - .offset:         8
        .size:           8
        .value_kind:     by_value
      - .actual_access:  read_only
        .address_space:  global
        .offset:         16
        .size:           8
        .value_kind:     global_buffer
      - .actual_access:  read_only
        .address_space:  global
        .offset:         24
        .size:           8
        .value_kind:     global_buffer
      - .offset:         32
        .size:           8
        .value_kind:     by_value
      - .actual_access:  read_only
        .address_space:  global
        .offset:         40
        .size:           8
        .value_kind:     global_buffer
      - .actual_access:  read_only
        .address_space:  global
        .offset:         48
        .size:           8
        .value_kind:     global_buffer
      - .offset:         56
        .size:           4
        .value_kind:     by_value
      - .actual_access:  read_only
        .address_space:  global
        .offset:         64
        .size:           8
        .value_kind:     global_buffer
      - .actual_access:  read_only
        .address_space:  global
        .offset:         72
        .size:           8
        .value_kind:     global_buffer
      - .address_space:  global
        .offset:         80
        .size:           8
        .value_kind:     global_buffer
    .group_segment_fixed_size: 0
    .kernarg_segment_align: 8
    .kernarg_segment_size: 88
    .language:       OpenCL C
    .language_version:
      - 2
      - 0
    .max_flat_workgroup_size: 208
    .name:           fft_rtc_back_len1040_factors_13_16_5_wgs_208_tpt_208_halfLds_sp_ip_CI_unitstride_sbrr_R2C_dirReg
    .private_segment_fixed_size: 0
    .sgpr_count:     26
    .sgpr_spill_count: 0
    .symbol:         fft_rtc_back_len1040_factors_13_16_5_wgs_208_tpt_208_halfLds_sp_ip_CI_unitstride_sbrr_R2C_dirReg.kd
    .uniform_work_group_size: 1
    .uses_dynamic_stack: false
    .vgpr_count:     63
    .vgpr_spill_count: 0
    .wavefront_size: 64
amdhsa.target:   amdgcn-amd-amdhsa--gfx906
amdhsa.version:
  - 1
  - 2
...

	.end_amdgpu_metadata
